;; amdgpu-corpus repo=ROCm/rocFFT kind=compiled arch=gfx1201 opt=O3
	.text
	.amdgcn_target "amdgcn-amd-amdhsa--gfx1201"
	.amdhsa_code_object_version 6
	.protected	fft_rtc_fwd_len50_factors_2_5_5_wgs_60_tpt_10_halfLds_dim1_sp_op_CI_CI_unitstride_sbrr_C2R_dirReg ; -- Begin function fft_rtc_fwd_len50_factors_2_5_5_wgs_60_tpt_10_halfLds_dim1_sp_op_CI_CI_unitstride_sbrr_C2R_dirReg
	.globl	fft_rtc_fwd_len50_factors_2_5_5_wgs_60_tpt_10_halfLds_dim1_sp_op_CI_CI_unitstride_sbrr_C2R_dirReg
	.p2align	8
	.type	fft_rtc_fwd_len50_factors_2_5_5_wgs_60_tpt_10_halfLds_dim1_sp_op_CI_CI_unitstride_sbrr_C2R_dirReg,@function
fft_rtc_fwd_len50_factors_2_5_5_wgs_60_tpt_10_halfLds_dim1_sp_op_CI_CI_unitstride_sbrr_C2R_dirReg: ; @fft_rtc_fwd_len50_factors_2_5_5_wgs_60_tpt_10_halfLds_dim1_sp_op_CI_CI_unitstride_sbrr_C2R_dirReg
; %bb.0:
	v_mul_u32_u24_e32 v1, 0x199a, v0
	s_load_b128 s[4:7], s[0:1], 0x18
                                        ; implicit-def: $vgpr4
	s_delay_alu instid0(VALU_DEP_1) | instskip(NEXT) | instid1(VALU_DEP_1)
	v_lshrrev_b32_e32 v1, 16, v1
	v_mad_co_u64_u32 v[6:7], null, ttmp9, 6, v[1:2]
	v_mov_b32_e32 v7, 0
	s_delay_alu instid0(VALU_DEP_2) | instskip(SKIP_1) | instid1(VALU_DEP_2)
	v_mul_hi_u32 v2, 0xaaaaaaab, v6
	s_wait_kmcnt 0x0
	v_cmp_gt_u64_e32 vcc_lo, s[6:7], v[6:7]
	v_cmp_le_u64_e64 s2, s[6:7], v[6:7]
                                        ; implicit-def: $vgpr7
	s_delay_alu instid0(VALU_DEP_3) | instskip(NEXT) | instid1(VALU_DEP_1)
	v_lshrrev_b32_e32 v2, 2, v2
	v_mul_lo_u32 v2, v2, 6
	s_delay_alu instid0(VALU_DEP_1) | instskip(NEXT) | instid1(VALU_DEP_4)
	v_sub_nc_u32_e32 v2, v6, v2
	s_and_saveexec_b32 s3, s2
	s_delay_alu instid0(SALU_CYCLE_1)
	s_xor_b32 s2, exec_lo, s3
; %bb.1:
	v_and_b32_e32 v1, 0xffff, v0
	s_delay_alu instid0(VALU_DEP_1) | instskip(NEXT) | instid1(VALU_DEP_1)
	v_mul_u32_u24_e32 v1, 0x199a, v1
	v_lshrrev_b32_e32 v1, 16, v1
	s_delay_alu instid0(VALU_DEP_1) | instskip(NEXT) | instid1(VALU_DEP_1)
	v_mul_lo_u16 v1, v1, 10
	v_sub_nc_u16 v7, v0, v1
                                        ; implicit-def: $vgpr1
                                        ; implicit-def: $vgpr0
	s_delay_alu instid0(VALU_DEP_1)
	v_and_b32_e32 v4, 0xffff, v7
; %bb.2:
	s_or_saveexec_b32 s3, s2
	s_load_b64 s[6:7], s[0:1], 0x0
	s_load_b64 s[4:5], s[4:5], 0x8
	v_mul_u32_u24_e32 v2, 51, v2
	s_delay_alu instid0(VALU_DEP_1)
	v_lshlrev_b32_e32 v11, 3, v2
	s_xor_b32 exec_lo, exec_lo, s3
	s_cbranch_execz .LBB0_6
; %bb.3:
	s_clause 0x1
	s_load_b64 s[8:9], s[0:1], 0x10
	s_load_b64 s[10:11], s[0:1], 0x50
	v_mul_lo_u16 v1, v1, 10
	s_delay_alu instid0(VALU_DEP_1)
	v_sub_nc_u16 v7, v0, v1
	s_wait_kmcnt 0x0
	s_load_b64 s[8:9], s[8:9], 0x8
	s_wait_kmcnt 0x0
	v_mad_co_u64_u32 v[8:9], null, s8, v6, 0
	s_mov_b32 s8, exec_lo
	s_delay_alu instid0(VALU_DEP_1) | instskip(NEXT) | instid1(VALU_DEP_1)
	v_mov_b32_e32 v3, v9
	v_mad_co_u64_u32 v[3:4], null, s9, v6, v[3:4]
	s_delay_alu instid0(VALU_DEP_1) | instskip(NEXT) | instid1(VALU_DEP_1)
	v_dual_mov_b32 v9, v3 :: v_dual_and_b32 v4, 0xffff, v7
	v_lshlrev_b32_e32 v3, 3, v4
	s_delay_alu instid0(VALU_DEP_2) | instskip(NEXT) | instid1(VALU_DEP_1)
	v_lshlrev_b64_e32 v[0:1], 3, v[8:9]
	v_add_co_u32 v0, s2, s10, v0
	s_delay_alu instid0(VALU_DEP_1) | instskip(NEXT) | instid1(VALU_DEP_2)
	v_add_co_ci_u32_e64 v1, s2, s11, v1, s2
	v_add_co_u32 v8, s2, v0, v3
	s_wait_alu 0xf1ff
	s_delay_alu instid0(VALU_DEP_2)
	v_add_co_ci_u32_e64 v9, s2, 0, v1, s2
	v_add3_u32 v3, 0, v11, v3
	s_clause 0x4
	global_load_b64 v[12:13], v[8:9], off
	global_load_b64 v[14:15], v[8:9], off offset:80
	global_load_b64 v[16:17], v[8:9], off offset:160
	;; [unrolled: 1-line block ×4, first 2 shown]
	s_wait_loadcnt 0x3
	ds_store_2addr_b64 v3, v[12:13], v[14:15] offset1:10
	s_wait_loadcnt 0x1
	ds_store_2addr_b64 v3, v[16:17], v[18:19] offset0:20 offset1:30
	s_wait_loadcnt 0x0
	ds_store_b64 v3, v[8:9] offset:320
	v_cmpx_eq_u16_e32 9, v7
	s_cbranch_execz .LBB0_5
; %bb.4:
	global_load_b64 v[0:1], v[0:1], off offset:400
	v_dual_mov_b32 v7, 9 :: v_dual_mov_b32 v4, 9
	s_wait_loadcnt 0x0
	ds_store_b64 v3, v[0:1] offset:328
.LBB0_5:
	s_wait_alu 0xfffe
	s_or_b32 exec_lo, exec_lo, s8
.LBB0_6:
	s_delay_alu instid0(SALU_CYCLE_1)
	s_or_b32 exec_lo, exec_lo, s3
	v_lshl_add_u32 v9, v2, 3, 0
	v_lshlrev_b32_e32 v12, 3, v4
	global_wb scope:SCOPE_SE
	s_wait_dscnt 0x0
	s_wait_kmcnt 0x0
	s_barrier_signal -1
	s_barrier_wait -1
	global_inv scope:SCOPE_SE
	v_add_nc_u32_e32 v10, v9, v12
	v_sub_nc_u32_e32 v8, v9, v12
	v_cmp_ne_u16_e64 s2, 0, v7
	ds_load_b32 v2, v10
	ds_load_b32 v3, v8 offset:400
	s_wait_dscnt 0x0
	v_dual_sub_f32 v1, v2, v3 :: v_dual_add_f32 v0, v3, v2
	s_and_saveexec_b32 s3, s2
	s_wait_alu 0xfffe
	s_xor_b32 s2, exec_lo, s3
	s_cbranch_execz .LBB0_8
; %bb.7:
	v_dual_add_f32 v5, v3, v2 :: v_dual_and_b32 v0, 0xffff, v7
	s_delay_alu instid0(VALU_DEP_1)
	v_dual_sub_f32 v15, v2, v3 :: v_dual_lshlrev_b32 v0, 3, v0
	global_load_b64 v[13:14], v0, s[6:7] offset:384
	ds_load_b32 v0, v8 offset:404
	ds_load_b32 v1, v10 offset:4
	s_wait_dscnt 0x0
	v_add_f32_e32 v16, v0, v1
	v_sub_f32_e32 v0, v1, v0
	s_wait_loadcnt 0x0
	v_fma_f32 v2, -v15, v14, v5
	s_delay_alu instid0(VALU_DEP_2) | instskip(SKIP_1) | instid1(VALU_DEP_2)
	v_fma_f32 v3, v16, v14, -v0
	v_fma_f32 v17, v15, v14, v5
	v_fmac_f32_e32 v3, v15, v13
	v_fma_f32 v1, v16, v14, v0
	v_fmac_f32_e32 v2, v13, v16
	s_delay_alu instid0(VALU_DEP_4) | instskip(NEXT) | instid1(VALU_DEP_3)
	v_fma_f32 v0, -v13, v16, v17
	v_fmac_f32_e32 v1, v15, v13
	ds_store_b64 v8, v[2:3] offset:400
.LBB0_8:
	s_wait_alu 0xfffe
	s_and_not1_saveexec_b32 s2, s2
	s_cbranch_execz .LBB0_10
; %bb.9:
	ds_load_b64 v[2:3], v9 offset:200
	s_wait_dscnt 0x0
	v_dual_add_f32 v2, v2, v2 :: v_dual_mul_f32 v3, -2.0, v3
	ds_store_b64 v9, v[2:3] offset:200
.LBB0_10:
	s_wait_alu 0xfffe
	s_or_b32 exec_lo, exec_lo, s2
	v_mov_b32_e32 v5, 0
	s_add_nc_u64 s[2:3], s[6:7], 0x180
	ds_store_b64 v10, v[0:1]
	v_lshlrev_b64_e32 v[2:3], 3, v[4:5]
	s_wait_alu 0xfffe
	s_delay_alu instid0(VALU_DEP_1) | instskip(SKIP_1) | instid1(VALU_DEP_2)
	v_add_co_u32 v2, s2, s2, v2
	s_wait_alu 0xf1ff
	v_add_co_ci_u32_e64 v3, s2, s3, v3, s2
	v_cmp_gt_u16_e64 s2, 5, v7
	global_load_b64 v[13:14], v[2:3], off offset:80
	ds_load_b64 v[0:1], v10 offset:80
	ds_load_b64 v[15:16], v8 offset:320
	s_wait_dscnt 0x0
	v_sub_f32_e32 v18, v0, v15
	v_dual_add_f32 v5, v0, v15 :: v_dual_sub_f32 v0, v1, v16
	v_add_f32_e32 v17, v16, v1
	s_wait_loadcnt 0x0
	s_delay_alu instid0(VALU_DEP_2) | instskip(NEXT) | instid1(VALU_DEP_2)
	v_fma_f32 v19, v18, v14, v5
	v_fma_f32 v1, v17, v14, v0
	v_fma_f32 v15, -v18, v14, v5
	v_fma_f32 v16, v17, v14, -v0
	s_delay_alu instid0(VALU_DEP_4) | instskip(NEXT) | instid1(VALU_DEP_4)
	v_fma_f32 v0, -v13, v17, v19
	v_fmac_f32_e32 v1, v18, v13
	s_delay_alu instid0(VALU_DEP_4) | instskip(NEXT) | instid1(VALU_DEP_4)
	v_fmac_f32_e32 v15, v13, v17
	v_fmac_f32_e32 v16, v18, v13
	ds_store_b64 v10, v[0:1] offset:80
	ds_store_b64 v8, v[15:16] offset:320
	s_and_saveexec_b32 s3, s2
	s_cbranch_execz .LBB0_12
; %bb.11:
	global_load_b64 v[0:1], v[2:3], off offset:160
	ds_load_b64 v[2:3], v10 offset:160
	ds_load_b64 v[13:14], v8 offset:240
	s_wait_dscnt 0x0
	v_sub_f32_e32 v15, v2, v13
	v_add_f32_e32 v7, v14, v3
	v_sub_f32_e32 v3, v3, v14
	v_add_f32_e32 v5, v2, v13
	s_wait_loadcnt 0x0
	s_delay_alu instid0(VALU_DEP_2) | instskip(NEXT) | instid1(VALU_DEP_1)
	v_fma_f32 v14, v7, v1, -v3
	v_fmac_f32_e32 v14, v15, v0
	v_fma_f32 v2, v7, v1, v3
	s_delay_alu instid0(VALU_DEP_1) | instskip(SKIP_2) | instid1(VALU_DEP_2)
	v_fmac_f32_e32 v2, v15, v0
	v_fma_f32 v16, v15, v1, v5
	v_fma_f32 v13, -v15, v1, v5
	v_fma_f32 v1, -v0, v7, v16
	s_delay_alu instid0(VALU_DEP_2)
	v_fmac_f32_e32 v13, v0, v7
	ds_store_b64 v10, v[1:2] offset:160
	ds_store_b64 v8, v[13:14] offset:240
.LBB0_12:
	s_wait_alu 0xfffe
	s_or_b32 exec_lo, exec_lo, s3
	v_add3_u32 v5, 0, v12, v11
	global_wb scope:SCOPE_SE
	s_wait_dscnt 0x0
	s_barrier_signal -1
	s_barrier_wait -1
	global_inv scope:SCOPE_SE
	global_wb scope:SCOPE_SE
	s_barrier_signal -1
	s_barrier_wait -1
	global_inv scope:SCOPE_SE
	ds_load_2addr_b64 v[13:16], v5 offset0:25 offset1:35
	ds_load_b64 v[17:18], v10
	ds_load_2addr_b64 v[0:3], v5 offset0:10 offset1:20
	ds_load_b64 v[7:8], v5 offset:360
	v_lshlrev_b32_e32 v19, 4, v4
	v_add_nc_u32_e32 v20, v5, v12
	global_wb scope:SCOPE_SE
	s_wait_dscnt 0x0
	s_barrier_signal -1
	s_barrier_wait -1
	global_inv scope:SCOPE_SE
	v_sub_f32_e32 v13, v17, v13
	v_dual_sub_f32 v15, v0, v15 :: v_dual_sub_f32 v14, v18, v14
	v_sub_f32_e32 v16, v1, v16
	v_add3_u32 v12, v19, 0, v11
	s_delay_alu instid0(VALU_DEP_4) | instskip(NEXT) | instid1(VALU_DEP_4)
	v_fma_f32 v17, v17, 2.0, -v13
	v_fma_f32 v0, v0, 2.0, -v15
	;; [unrolled: 1-line block ×4, first 2 shown]
	ds_store_2addr_b64 v20, v[17:18], v[13:14] offset1:1
	ds_store_2addr_b64 v12, v[0:1], v[15:16] offset0:20 offset1:21
	s_and_saveexec_b32 s3, s2
	s_cbranch_execz .LBB0_14
; %bb.13:
	v_dual_sub_f32 v1, v3, v8 :: v_dual_sub_f32 v0, v2, v7
	s_delay_alu instid0(VALU_DEP_1) | instskip(NEXT) | instid1(VALU_DEP_2)
	v_fma_f32 v3, v3, 2.0, -v1
	v_fma_f32 v2, v2, 2.0, -v0
	ds_store_2addr_b64 v12, v[2:3], v[0:1] offset0:40 offset1:41
.LBB0_14:
	s_wait_alu 0xfffe
	s_or_b32 exec_lo, exec_lo, s3
	v_dual_mov_b32 v1, 0 :: v_dual_and_b32 v2, 1, v4
	global_wb scope:SCOPE_SE
	s_wait_dscnt 0x0
	s_barrier_signal -1
	s_barrier_wait -1
	v_lshlrev_b32_e32 v0, 5, v2
	global_inv scope:SCOPE_SE
	s_clause 0x1
	global_load_b128 v[12:15], v0, s[6:7]
	global_load_b128 v[16:19], v0, s[6:7] offset:16
	v_lshrrev_b32_e32 v0, 1, v4
	ds_load_2addr_b64 v[20:23], v5 offset0:10 offset1:20
	ds_load_2addr_b64 v[24:27], v5 offset0:30 offset1:40
	v_mul_u32_u24_e32 v3, 10, v0
	v_lshlrev_b32_e32 v0, 2, v4
	s_delay_alu instid0(VALU_DEP_2)
	v_or_b32_e32 v28, v3, v2
	ds_load_2addr_b32 v[2:3], v10 offset1:1
	v_lshlrev_b64_e32 v[7:8], 3, v[0:1]
	global_wb scope:SCOPE_SE
	s_wait_loadcnt_dscnt 0x0
	s_barrier_signal -1
	v_lshlrev_b32_e32 v0, 3, v28
	s_barrier_wait -1
	global_inv scope:SCOPE_SE
	v_add_co_u32 v7, s2, s6, v7
	s_wait_alu 0xf1ff
	v_add_co_ci_u32_e64 v8, s2, s7, v8, s2
	v_dual_mul_f32 v28, v15, v23 :: v_dual_mul_f32 v29, v17, v25
	v_add3_u32 v0, 0, v0, v11
	v_mul_f32_e32 v11, v13, v21
	v_mul_f32_e32 v13, v13, v20
	;; [unrolled: 1-line block ×3, first 2 shown]
	v_dual_mul_f32 v17, v17, v24 :: v_dual_mul_f32 v30, v19, v27
	s_delay_alu instid0(VALU_DEP_4) | instskip(NEXT) | instid1(VALU_DEP_4)
	v_fma_f32 v11, v12, v20, -v11
	v_fmac_f32_e32 v13, v12, v21
	v_fma_f32 v12, v14, v22, -v28
	v_mul_f32_e32 v19, v19, v26
	v_fmac_f32_e32 v15, v14, v23
	v_fma_f32 v14, v16, v24, -v29
	v_dual_fmac_f32 v17, v16, v25 :: v_dual_add_f32 v16, v11, v2
	v_add_f32_e32 v28, v3, v13
	s_delay_alu instid0(VALU_DEP_3) | instskip(SKIP_4) | instid1(VALU_DEP_4)
	v_dual_add_f32 v20, v12, v14 :: v_dual_fmac_f32 v19, v18, v27
	v_fma_f32 v18, v18, v26, -v30
	v_dual_sub_f32 v23, v11, v12 :: v_dual_sub_f32 v32, v13, v15
	v_sub_f32_e32 v26, v12, v11
	v_add_f32_e32 v16, v16, v12
	v_sub_f32_e32 v24, v18, v14
	v_sub_f32_e32 v22, v15, v17
	v_dual_add_f32 v25, v11, v18 :: v_dual_add_f32 v34, v13, v19
	v_sub_f32_e32 v21, v13, v19
	v_add_f32_e32 v29, v15, v17
	v_dual_sub_f32 v30, v11, v18 :: v_dual_sub_f32 v35, v17, v19
	v_fma_f32 v11, -0.5, v20, v2
	v_fma_f32 v2, -0.5, v25, v2
	v_sub_f32_e32 v27, v14, v18
	v_dual_sub_f32 v31, v12, v14 :: v_dual_add_f32 v20, v23, v24
	v_dual_sub_f32 v13, v15, v13 :: v_dual_add_f32 v24, v28, v15
	v_fma_f32 v12, -0.5, v29, v3
	v_fmamk_f32 v15, v22, 0xbf737871, v2
	v_dual_fmac_f32 v2, 0x3f737871, v22 :: v_dual_sub_f32 v33, v19, v17
	v_fmac_f32_e32 v3, -0.5, v34
	v_dual_add_f32 v23, v26, v27 :: v_dual_add_f32 v24, v24, v17
	s_delay_alu instid0(VALU_DEP_3)
	v_dual_add_f32 v26, v13, v35 :: v_dual_add_f32 v25, v32, v33
	v_fmamk_f32 v13, v21, 0x3f737871, v11
	v_fmac_f32_e32 v11, 0xbf737871, v21
	v_dual_fmac_f32 v2, 0xbf167918, v21 :: v_dual_add_f32 v27, v16, v14
	v_fmamk_f32 v16, v31, 0x3f737871, v3
	v_dual_fmamk_f32 v14, v30, 0xbf737871, v12 :: v_dual_fmac_f32 v3, 0xbf737871, v31
	v_fmac_f32_e32 v12, 0x3f737871, v30
	s_delay_alu instid0(VALU_DEP_4) | instskip(SKIP_1) | instid1(VALU_DEP_4)
	v_add_f32_e32 v17, v27, v18
	v_dual_fmac_f32 v13, 0x3f167918, v22 :: v_dual_add_f32 v18, v24, v19
	v_dual_fmac_f32 v11, 0xbf167918, v22 :: v_dual_fmac_f32 v14, 0xbf167918, v31
	v_fmac_f32_e32 v15, 0x3f167918, v21
	v_fmac_f32_e32 v16, 0xbf167918, v30
	v_dual_fmac_f32 v3, 0x3f167918, v30 :: v_dual_fmac_f32 v12, 0x3f167918, v31
	v_dual_fmac_f32 v13, 0x3e9e377a, v20 :: v_dual_fmac_f32 v2, 0x3e9e377a, v23
	;; [unrolled: 1-line block ×3, first 2 shown]
	s_delay_alu instid0(VALU_DEP_3)
	v_dual_fmac_f32 v15, 0x3e9e377a, v23 :: v_dual_fmac_f32 v12, 0x3e9e377a, v25
	v_fmac_f32_e32 v16, 0x3e9e377a, v26
	v_fmac_f32_e32 v3, 0x3e9e377a, v26
	ds_store_2addr_b64 v0, v[17:18], v[13:14] offset1:2
	ds_store_2addr_b64 v0, v[15:16], v[2:3] offset0:4 offset1:6
	ds_store_b64 v0, v[11:12] offset:64
	global_wb scope:SCOPE_SE
	s_wait_dscnt 0x0
	s_barrier_signal -1
	s_barrier_wait -1
	global_inv scope:SCOPE_SE
	s_clause 0x1
	global_load_b128 v[11:14], v[7:8], off offset:64
	global_load_b128 v[15:18], v[7:8], off offset:80
	ds_load_2addr_b64 v[19:22], v5 offset0:10 offset1:20
	ds_load_2addr_b64 v[23:26], v5 offset0:30 offset1:40
	ds_load_2addr_b32 v[2:3], v10 offset1:1
	global_wb scope:SCOPE_SE
	s_wait_loadcnt_dscnt 0x0
	s_barrier_signal -1
	s_barrier_wait -1
	global_inv scope:SCOPE_SE
	v_mul_f32_e32 v0, v12, v20
	v_dual_mul_f32 v7, v12, v19 :: v_dual_mul_f32 v8, v14, v22
	v_mul_f32_e32 v12, v16, v24
	v_mul_f32_e32 v10, v14, v21
	;; [unrolled: 1-line block ×3, first 2 shown]
	v_fma_f32 v0, v11, v19, -v0
	v_fmac_f32_e32 v7, v11, v20
	v_fma_f32 v8, v13, v21, -v8
	v_fma_f32 v11, v15, v23, -v12
	v_mul_f32_e32 v16, v18, v26
	v_mul_f32_e32 v18, v18, v25
	s_delay_alu instid0(VALU_DEP_4) | instskip(NEXT) | instid1(VALU_DEP_4)
	v_dual_fmac_f32 v10, v13, v22 :: v_dual_sub_f32 v19, v0, v8
	v_dual_fmac_f32 v14, v15, v24 :: v_dual_add_f32 v13, v8, v11
	s_delay_alu instid0(VALU_DEP_4) | instskip(NEXT) | instid1(VALU_DEP_4)
	v_fma_f32 v15, v17, v25, -v16
	v_fmac_f32_e32 v18, v17, v26
	v_add_f32_e32 v12, v0, v2
	v_dual_sub_f32 v26, v8, v11 :: v_dual_sub_f32 v27, v7, v10
	s_delay_alu instid0(VALU_DEP_4) | instskip(SKIP_4) | instid1(VALU_DEP_4)
	v_add_f32_e32 v21, v0, v15
	v_add_f32_e32 v24, v3, v7
	v_dual_add_f32 v29, v7, v18 :: v_dual_sub_f32 v30, v10, v7
	v_sub_f32_e32 v16, v7, v18
	v_fma_f32 v7, -0.5, v13, v2
	v_add_f32_e32 v13, v24, v10
	v_dual_sub_f32 v22, v8, v0 :: v_dual_add_f32 v25, v10, v14
	v_dual_sub_f32 v17, v10, v14 :: v_dual_sub_f32 v20, v15, v11
	v_sub_f32_e32 v23, v11, v15
	v_sub_f32_e32 v0, v0, v15
	v_add_f32_e32 v12, v12, v8
	v_fma_f32 v2, -0.5, v21, v2
	v_fma_f32 v8, -0.5, v25, v3
	v_fmac_f32_e32 v3, -0.5, v29
	v_sub_f32_e32 v31, v14, v18
	v_dual_add_f32 v19, v19, v20 :: v_dual_fmamk_f32 v10, v16, 0x3f737871, v7
	s_delay_alu instid0(VALU_DEP_3)
	v_dual_add_f32 v24, v13, v14 :: v_dual_fmamk_f32 v13, v26, 0x3f737871, v3
	v_sub_f32_e32 v28, v18, v14
	v_add_f32_e32 v20, v22, v23
	v_dual_add_f32 v23, v12, v11 :: v_dual_fmamk_f32 v12, v17, 0xbf737871, v2
	v_fmac_f32_e32 v3, 0xbf737871, v26
	v_fmamk_f32 v11, v0, 0xbf737871, v8
	v_fmac_f32_e32 v2, 0x3f737871, v17
	v_dual_add_f32 v22, v30, v31 :: v_dual_fmac_f32 v7, 0xbf737871, v16
	v_fmac_f32_e32 v8, 0x3f737871, v0
	v_add_f32_e32 v21, v27, v28
	v_add_f32_e32 v14, v23, v15
	v_dual_fmac_f32 v10, 0x3f167918, v17 :: v_dual_fmac_f32 v3, 0x3f167918, v0
	v_dual_add_f32 v15, v24, v18 :: v_dual_fmac_f32 v2, 0xbf167918, v16
	v_fmac_f32_e32 v11, 0xbf167918, v26
	v_fmac_f32_e32 v7, 0xbf167918, v17
	;; [unrolled: 1-line block ×5, first 2 shown]
	v_dual_fmac_f32 v10, 0x3e9e377a, v19 :: v_dual_fmac_f32 v11, 0x3e9e377a, v21
	s_delay_alu instid0(VALU_DEP_4) | instskip(NEXT) | instid1(VALU_DEP_4)
	v_dual_fmac_f32 v7, 0x3e9e377a, v19 :: v_dual_fmac_f32 v12, 0x3e9e377a, v20
	v_dual_fmac_f32 v2, 0x3e9e377a, v20 :: v_dual_fmac_f32 v13, 0x3e9e377a, v22
	s_delay_alu instid0(VALU_DEP_4)
	v_dual_fmac_f32 v3, 0x3e9e377a, v22 :: v_dual_fmac_f32 v8, 0x3e9e377a, v21
	ds_store_2addr_b64 v5, v[14:15], v[10:11] offset1:10
	ds_store_2addr_b64 v5, v[12:13], v[2:3] offset0:20 offset1:30
	ds_store_b64 v5, v[7:8] offset:320
	global_wb scope:SCOPE_SE
	s_wait_dscnt 0x0
	s_barrier_signal -1
	s_barrier_wait -1
	global_inv scope:SCOPE_SE
	s_and_saveexec_b32 s2, vcc_lo
	s_cbranch_execz .LBB0_16
; %bb.15:
	v_mad_co_u64_u32 v[2:3], null, s4, v6, 0
	s_load_b64 s[0:1], s[0:1], 0x58
	v_dual_mov_b32 v5, v1 :: v_dual_add_nc_u32 v0, 10, v4
	v_lshl_add_u32 v20, v4, 3, v9
	s_delay_alu instid0(VALU_DEP_2) | instskip(NEXT) | instid1(VALU_DEP_4)
	v_lshlrev_b64_e32 v[14:15], 3, v[0:1]
	v_mad_co_u64_u32 v[6:7], null, s5, v6, v[3:4]
	v_add_nc_u32_e32 v0, 20, v4
	v_lshlrev_b64_e32 v[18:19], 3, v[4:5]
	s_delay_alu instid0(VALU_DEP_3)
	v_mov_b32_e32 v3, v6
	ds_load_2addr_b64 v[6:9], v20 offset1:10
	ds_load_2addr_b64 v[10:13], v20 offset0:20 offset1:30
	ds_load_b64 v[20:21], v20 offset:320
	v_lshlrev_b64_e32 v[16:17], 3, v[0:1]
	v_add_nc_u32_e32 v0, 30, v4
	v_lshlrev_b64_e32 v[2:3], 3, v[2:3]
	s_delay_alu instid0(VALU_DEP_2) | instskip(SKIP_2) | instid1(VALU_DEP_3)
	v_lshlrev_b64_e32 v[22:23], 3, v[0:1]
	v_add_nc_u32_e32 v0, 40, v4
	s_wait_kmcnt 0x0
	v_add_co_u32 v24, vcc_lo, s0, v2
	s_delay_alu instid0(VALU_DEP_4) | instskip(NEXT) | instid1(VALU_DEP_3)
	v_add_co_ci_u32_e32 v25, vcc_lo, s1, v3, vcc_lo
	v_lshlrev_b64_e32 v[0:1], 3, v[0:1]
	s_delay_alu instid0(VALU_DEP_3) | instskip(SKIP_1) | instid1(VALU_DEP_3)
	v_add_co_u32 v2, vcc_lo, v24, v18
	s_wait_alu 0xfffd
	v_add_co_ci_u32_e32 v3, vcc_lo, v25, v19, vcc_lo
	v_add_co_u32 v4, vcc_lo, v24, v14
	s_wait_alu 0xfffd
	v_add_co_ci_u32_e32 v5, vcc_lo, v25, v15, vcc_lo
	;; [unrolled: 3-line block ×5, first 2 shown]
	s_wait_dscnt 0x2
	s_clause 0x1
	global_store_b64 v[2:3], v[6:7], off
	global_store_b64 v[4:5], v[8:9], off
	s_wait_dscnt 0x1
	s_clause 0x1
	global_store_b64 v[14:15], v[10:11], off
	global_store_b64 v[16:17], v[12:13], off
	s_wait_dscnt 0x0
	global_store_b64 v[0:1], v[20:21], off
.LBB0_16:
	s_nop 0
	s_sendmsg sendmsg(MSG_DEALLOC_VGPRS)
	s_endpgm
	.section	.rodata,"a",@progbits
	.p2align	6, 0x0
	.amdhsa_kernel fft_rtc_fwd_len50_factors_2_5_5_wgs_60_tpt_10_halfLds_dim1_sp_op_CI_CI_unitstride_sbrr_C2R_dirReg
		.amdhsa_group_segment_fixed_size 0
		.amdhsa_private_segment_fixed_size 0
		.amdhsa_kernarg_size 96
		.amdhsa_user_sgpr_count 2
		.amdhsa_user_sgpr_dispatch_ptr 0
		.amdhsa_user_sgpr_queue_ptr 0
		.amdhsa_user_sgpr_kernarg_segment_ptr 1
		.amdhsa_user_sgpr_dispatch_id 0
		.amdhsa_user_sgpr_private_segment_size 0
		.amdhsa_wavefront_size32 1
		.amdhsa_uses_dynamic_stack 0
		.amdhsa_enable_private_segment 0
		.amdhsa_system_sgpr_workgroup_id_x 1
		.amdhsa_system_sgpr_workgroup_id_y 0
		.amdhsa_system_sgpr_workgroup_id_z 0
		.amdhsa_system_sgpr_workgroup_info 0
		.amdhsa_system_vgpr_workitem_id 0
		.amdhsa_next_free_vgpr 36
		.amdhsa_next_free_sgpr 12
		.amdhsa_reserve_vcc 1
		.amdhsa_float_round_mode_32 0
		.amdhsa_float_round_mode_16_64 0
		.amdhsa_float_denorm_mode_32 3
		.amdhsa_float_denorm_mode_16_64 3
		.amdhsa_fp16_overflow 0
		.amdhsa_workgroup_processor_mode 1
		.amdhsa_memory_ordered 1
		.amdhsa_forward_progress 0
		.amdhsa_round_robin_scheduling 0
		.amdhsa_exception_fp_ieee_invalid_op 0
		.amdhsa_exception_fp_denorm_src 0
		.amdhsa_exception_fp_ieee_div_zero 0
		.amdhsa_exception_fp_ieee_overflow 0
		.amdhsa_exception_fp_ieee_underflow 0
		.amdhsa_exception_fp_ieee_inexact 0
		.amdhsa_exception_int_div_zero 0
	.end_amdhsa_kernel
	.text
.Lfunc_end0:
	.size	fft_rtc_fwd_len50_factors_2_5_5_wgs_60_tpt_10_halfLds_dim1_sp_op_CI_CI_unitstride_sbrr_C2R_dirReg, .Lfunc_end0-fft_rtc_fwd_len50_factors_2_5_5_wgs_60_tpt_10_halfLds_dim1_sp_op_CI_CI_unitstride_sbrr_C2R_dirReg
                                        ; -- End function
	.section	.AMDGPU.csdata,"",@progbits
; Kernel info:
; codeLenInByte = 2980
; NumSgprs: 14
; NumVgprs: 36
; ScratchSize: 0
; MemoryBound: 0
; FloatMode: 240
; IeeeMode: 1
; LDSByteSize: 0 bytes/workgroup (compile time only)
; SGPRBlocks: 1
; VGPRBlocks: 4
; NumSGPRsForWavesPerEU: 14
; NumVGPRsForWavesPerEU: 36
; Occupancy: 16
; WaveLimiterHint : 1
; COMPUTE_PGM_RSRC2:SCRATCH_EN: 0
; COMPUTE_PGM_RSRC2:USER_SGPR: 2
; COMPUTE_PGM_RSRC2:TRAP_HANDLER: 0
; COMPUTE_PGM_RSRC2:TGID_X_EN: 1
; COMPUTE_PGM_RSRC2:TGID_Y_EN: 0
; COMPUTE_PGM_RSRC2:TGID_Z_EN: 0
; COMPUTE_PGM_RSRC2:TIDIG_COMP_CNT: 0
	.text
	.p2alignl 7, 3214868480
	.fill 96, 4, 3214868480
	.type	__hip_cuid_1ee6769938e36684,@object ; @__hip_cuid_1ee6769938e36684
	.section	.bss,"aw",@nobits
	.globl	__hip_cuid_1ee6769938e36684
__hip_cuid_1ee6769938e36684:
	.byte	0                               ; 0x0
	.size	__hip_cuid_1ee6769938e36684, 1

	.ident	"AMD clang version 19.0.0git (https://github.com/RadeonOpenCompute/llvm-project roc-6.4.0 25133 c7fe45cf4b819c5991fe208aaa96edf142730f1d)"
	.section	".note.GNU-stack","",@progbits
	.addrsig
	.addrsig_sym __hip_cuid_1ee6769938e36684
	.amdgpu_metadata
---
amdhsa.kernels:
  - .args:
      - .actual_access:  read_only
        .address_space:  global
        .offset:         0
        .size:           8
        .value_kind:     global_buffer
      - .actual_access:  read_only
        .address_space:  global
        .offset:         8
        .size:           8
        .value_kind:     global_buffer
      - .actual_access:  read_only
        .address_space:  global
        .offset:         16
        .size:           8
        .value_kind:     global_buffer
      - .actual_access:  read_only
        .address_space:  global
        .offset:         24
        .size:           8
        .value_kind:     global_buffer
      - .offset:         32
        .size:           8
        .value_kind:     by_value
      - .actual_access:  read_only
        .address_space:  global
        .offset:         40
        .size:           8
        .value_kind:     global_buffer
      - .actual_access:  read_only
        .address_space:  global
        .offset:         48
        .size:           8
        .value_kind:     global_buffer
      - .offset:         56
        .size:           4
        .value_kind:     by_value
      - .actual_access:  read_only
        .address_space:  global
        .offset:         64
        .size:           8
        .value_kind:     global_buffer
      - .actual_access:  read_only
        .address_space:  global
        .offset:         72
        .size:           8
        .value_kind:     global_buffer
      - .actual_access:  read_only
        .address_space:  global
        .offset:         80
        .size:           8
        .value_kind:     global_buffer
      - .actual_access:  write_only
        .address_space:  global
        .offset:         88
        .size:           8
        .value_kind:     global_buffer
    .group_segment_fixed_size: 0
    .kernarg_segment_align: 8
    .kernarg_segment_size: 96
    .language:       OpenCL C
    .language_version:
      - 2
      - 0
    .max_flat_workgroup_size: 60
    .name:           fft_rtc_fwd_len50_factors_2_5_5_wgs_60_tpt_10_halfLds_dim1_sp_op_CI_CI_unitstride_sbrr_C2R_dirReg
    .private_segment_fixed_size: 0
    .sgpr_count:     14
    .sgpr_spill_count: 0
    .symbol:         fft_rtc_fwd_len50_factors_2_5_5_wgs_60_tpt_10_halfLds_dim1_sp_op_CI_CI_unitstride_sbrr_C2R_dirReg.kd
    .uniform_work_group_size: 1
    .uses_dynamic_stack: false
    .vgpr_count:     36
    .vgpr_spill_count: 0
    .wavefront_size: 32
    .workgroup_processor_mode: 1
amdhsa.target:   amdgcn-amd-amdhsa--gfx1201
amdhsa.version:
  - 1
  - 2
...

	.end_amdgpu_metadata
